;; amdgpu-corpus repo=zjin-lcf/HeCBench kind=compiled arch=gfx906 opt=O3
	.amdgcn_target "amdgcn-amd-amdhsa--gfx906"
	.amdhsa_code_object_version 6
	.text
	.protected	_Z11lombscargleiiPKfS0_S0_Pff ; -- Begin function _Z11lombscargleiiPKfS0_S0_Pff
	.globl	_Z11lombscargleiiPKfS0_S0_Pff
	.p2align	8
	.type	_Z11lombscargleiiPKfS0_S0_Pff,@function
_Z11lombscargleiiPKfS0_S0_Pff:          ; @_Z11lombscargleiiPKfS0_S0_Pff
; %bb.0:
	s_load_dword s2, s[4:5], 0x3c
	s_load_dwordx2 s[16:17], s[4:5], 0x0
	s_add_u32 s0, s4, 48
	s_addc_u32 s1, s5, 0
	s_waitcnt lgkmcnt(0)
	s_and_b32 s2, s2, 0xffff
	s_mul_i32 s6, s6, s2
	v_add_u32_e32 v0, s6, v0
	v_cmp_gt_i32_e32 vcc, s17, v0
	s_and_saveexec_b64 s[6:7], vcc
	s_cbranch_execz .LBB0_14
; %bb.1:
	s_load_dword s27, s[0:1], 0x0
	s_load_dwordx8 s[8:15], s[4:5], 0x8
	s_load_dword s26, s[4:5], 0x28
	s_cmp_gt_i32 s16, 0
	s_cselect_b64 s[0:1], -1, 0
	v_cndmask_b32_e64 v1, 0, 1, s[0:1]
	s_mov_b64 s[18:19], 0
	s_waitcnt lgkmcnt(0)
	s_mul_i32 s27, s27, s2
	v_mov_b32_e32 v5, s13
	v_cmp_ne_u32_e64 s[0:1], 1, v1
	s_brev_b32 s13, -2
	s_brev_b32 s28, 18
	s_mov_b32 s29, 0xfe5163ab
	v_mov_b32_e32 v2, 0
	s_mov_b32 s30, 0x3c439041
	s_mov_b32 s31, 0xdb629599
	;; [unrolled: 1-line block ×9, first 2 shown]
	v_mov_b32_e32 v6, 0xbe2aaa9d
	v_mov_b32_e32 v7, 0x3d2aabf7
	;; [unrolled: 1-line block ×3, first 2 shown]
	s_movk_i32 s40, 0x1f8
	v_mov_b32_e32 v9, 0xbd97d4d7
	v_mov_b32_e32 v10, 0x3dd931b2
	;; [unrolled: 1-line block ×5, first 2 shown]
	s_movk_i32 s41, 0x204
	v_not_b32_e32 v14, 63
	v_not_b32_e32 v15, 31
	v_mov_b32_e32 v16, 0x7fc00000
	v_mov_b32_e32 v17, 0x40490fdb
	;; [unrolled: 1-line block ×4, first 2 shown]
	s_branch .LBB0_3
.LBB0_2:                                ;   in Loop: Header=BB0_3 Depth=1
	s_or_b64 exec, exec, s[2:3]
	v_mul_f32_e32 v28, v1, v1
	v_mov_b32_e32 v29, 0x3c0881c4
	v_fmac_f32_e32 v29, 0xb94c1982, v28
	v_fma_f32 v29, v28, v29, v6
	v_mul_f32_e32 v29, v28, v29
	v_fmac_f32_e32 v1, v1, v29
	v_mov_b32_e32 v29, 0xbab64f3b
	v_fmac_f32_e32 v29, 0x37d75334, v28
	v_fma_f32 v29, v28, v29, v7
	v_fma_f32 v29, v28, v29, v8
	v_fma_f32 v28, v28, v29, 1.0
	v_lshlrev_b32_e32 v29, 30, v27
	v_and_b32_e32 v27, 1, v27
	v_cmp_eq_u32_e32 vcc, 0, v27
	v_cndmask_b32_e32 v27, v28, v1, vcc
	v_xor_b32_e32 v1, 0x80000000, v1
	v_and_b32_e32 v29, 0x80000000, v29
	v_xor_b32_e32 v26, v26, v25
	v_cndmask_b32_e32 v1, v1, v28, vcc
	v_xor_b32_e32 v26, v26, v27
	v_xor_b32_e32 v1, v1, v29
	v_cmp_class_f32_e64 vcc, v25, s40
	v_xor_b32_e32 v26, v26, v29
	v_cndmask_b32_e32 v1, v16, v1, vcc
	v_cndmask_b32_e32 v25, v16, v26, vcc
	v_add_f32_e32 v28, v1, v1
	v_mul_f32_e32 v28, v28, v25
	v_mul_f32_e32 v26, v1, v1
	;; [unrolled: 1-line block ×5, first 2 shown]
	v_fmac_f32_e32 v29, v20, v1
	v_fma_f32 v28, v23, v26, v24
	v_mul_f32_e32 v29, v29, v29
	v_fmac_f32_e32 v28, v22, v27
	v_div_scale_f32 v30, s[2:3], v28, v28, v29
	v_mul_f32_e32 v20, v20, v25
	v_div_scale_f32 v31, vcc, v29, v28, v29
	v_fma_f32 v1, v21, v1, -v20
	v_fma_f32 v20, v22, v26, -v24
	v_mul_f32_e32 v1, v1, v1
	v_fmac_f32_e32 v20, v23, v27
	v_div_scale_f32 v21, s[2:3], v20, v20, v1
	v_div_scale_f32 v22, s[2:3], v1, v20, v1
	v_add_u32_e32 v0, s27, v0
	v_rcp_f32_e32 v23, v30
	v_fma_f32 v24, -v30, v23, 1.0
	v_fmac_f32_e32 v23, v24, v23
	v_mul_f32_e32 v24, v31, v23
	v_fma_f32 v25, -v30, v24, v31
	v_fmac_f32_e32 v24, v25, v23
	v_rcp_f32_e32 v25, v21
	v_fma_f32 v26, -v30, v24, v31
	v_div_fmas_f32 v23, v26, v23, v24
	s_mov_b64 vcc, s[2:3]
	v_fma_f32 v24, -v21, v25, 1.0
	v_fmac_f32_e32 v25, v24, v25
	v_mul_f32_e32 v24, v22, v25
	v_fma_f32 v26, -v21, v24, v22
	v_fmac_f32_e32 v24, v26, v25
	v_fma_f32 v21, -v21, v24, v22
	v_div_fmas_f32 v21, v21, v25, v24
	v_add_co_u32_e32 v3, vcc, s14, v3
	v_div_fixup_f32 v22, v23, v28, v29
	v_div_fixup_f32 v1, v21, v20, v1
	v_mov_b32_e32 v20, s15
	v_add_f32_e32 v1, v22, v1
	v_addc_co_u32_e32 v4, vcc, v20, v4, vcc
	v_mul_f32_e32 v1, 0.5, v1
	v_cmp_le_i32_e32 vcc, s17, v0
	v_mul_f32_e32 v1, s26, v1
	s_or_b64 s[18:19], vcc, s[18:19]
	global_store_dword v[3:4], v1, off
	s_andn2_b64 exec, exec, s[18:19]
	s_cbranch_execz .LBB0_14
.LBB0_3:                                ; =>This Loop Header: Depth=1
                                        ;     Child Loop BB0_6 Depth 2
	v_ashrrev_i32_e32 v1, 31, v0
	v_lshlrev_b64 v[3:4], 2, v[0:1]
	v_mov_b32_e32 v24, v2
	v_add_co_u32_e32 v20, vcc, s12, v3
	v_addc_co_u32_e32 v21, vcc, v5, v4, vcc
	global_load_dword v25, v[20:21], off
	s_and_b64 vcc, exec, s[0:1]
	v_mov_b32_e32 v20, v2
	v_mov_b32_e32 v21, v2
	;; [unrolled: 1-line block ×4, first 2 shown]
	s_cbranch_vccnz .LBB0_10
; %bb.4:                                ;   in Loop: Header=BB0_3 Depth=1
	v_mov_b32_e32 v20, 0
	s_mov_b64 s[20:21], s[10:11]
	s_mov_b64 s[22:23], s[8:9]
	s_mov_b32 s42, s16
	v_mov_b32_e32 v21, 0
	v_mov_b32_e32 v24, 0
	v_mov_b32_e32 v22, 0
	v_mov_b32_e32 v23, 0
	s_branch .LBB0_6
.LBB0_5:                                ;   in Loop: Header=BB0_6 Depth=2
	s_or_b64 exec, exec, s[2:3]
	v_mul_f32_e32 v29, v1, v1
	v_mov_b32_e32 v30, 0x3c0881c4
	v_fmac_f32_e32 v30, 0xb94c1982, v29
	v_fma_f32 v30, v29, v30, v6
	v_mul_f32_e32 v30, v29, v30
	v_fmac_f32_e32 v1, v1, v30
	v_mov_b32_e32 v30, 0xbab64f3b
	v_fmac_f32_e32 v30, 0x37d75334, v29
	v_fma_f32 v30, v29, v30, v7
	v_fma_f32 v30, v29, v30, v8
	v_fma_f32 v29, v29, v30, 1.0
	v_lshlrev_b32_e32 v30, 30, v28
	v_and_b32_e32 v28, 1, v28
	v_cmp_eq_u32_e32 vcc, 0, v28
	s_load_dword s2, s[20:21], 0x0
	s_add_i32 s42, s42, -1
	v_cndmask_b32_e32 v28, v29, v1, vcc
	v_xor_b32_e32 v27, v27, v26
	v_xor_b32_e32 v1, 0x80000000, v1
	s_add_u32 s22, s22, 4
	v_and_b32_e32 v30, 0x80000000, v30
	v_xor_b32_e32 v27, v27, v28
	v_cndmask_b32_e32 v1, v1, v29, vcc
	s_addc_u32 s23, s23, 0
	v_xor_b32_e32 v27, v27, v30
	v_xor_b32_e32 v1, v1, v30
	v_cmp_class_f32_e64 vcc, v26, s40
	s_add_u32 s20, s20, 4
	v_cndmask_b32_e32 v1, v16, v1, vcc
	v_cndmask_b32_e32 v26, v16, v27, vcc
	s_addc_u32 s21, s21, 0
	s_waitcnt lgkmcnt(0)
	v_fmac_f32_e32 v20, s2, v1
	v_fmac_f32_e32 v21, s2, v26
	;; [unrolled: 1-line block ×4, first 2 shown]
	s_cmp_eq_u32 s42, 0
	v_fmac_f32_e32 v24, v1, v26
	s_cbranch_scc1 .LBB0_10
.LBB0_6:                                ;   Parent Loop BB0_3 Depth=1
                                        ; =>  This Inner Loop Header: Depth=2
	s_load_dword s2, s[22:23], 0x0
                                        ; implicit-def: $vgpr28
                                        ; implicit-def: $vgpr1
	s_waitcnt vmcnt(0) lgkmcnt(0)
	v_mul_f32_e32 v26, s2, v25
	v_and_b32_e32 v27, 0x7fffffff, v26
	v_cmp_nlt_f32_e64 s[2:3], |v26|, s28
	s_and_saveexec_b64 s[4:5], s[2:3]
	s_xor_b64 s[24:25], exec, s[4:5]
	s_cbranch_execz .LBB0_8
; %bb.7:                                ;   in Loop: Header=BB0_6 Depth=2
	v_and_b32_e32 v1, 0x7fffff, v27
	v_or_b32_e32 v35, 0x800000, v1
	v_mad_u64_u32 v[28:29], s[2:3], v35, s29, 0
	v_mov_b32_e32 v1, v29
	v_mad_u64_u32 v[29:30], s[2:3], v35, s30, v[1:2]
	v_mov_b32_e32 v1, v30
	;; [unrolled: 2-line block ×3, first 2 shown]
	v_mad_u64_u32 v[31:32], s[2:3], v35, s33, v[1:2]
	v_lshrrev_b32_e32 v1, 23, v27
	v_add_u32_e32 v34, 0xffffff88, v1
	v_mov_b32_e32 v1, v32
	v_mad_u64_u32 v[32:33], s[2:3], v35, s34, v[1:2]
	v_cmp_lt_u32_e32 vcc, 63, v34
	v_cndmask_b32_e32 v1, 0, v14, vcc
	v_add_u32_e32 v36, v1, v34
	v_mov_b32_e32 v1, v33
	v_mad_u64_u32 v[33:34], s[2:3], v35, s35, v[1:2]
	v_cmp_lt_u32_e64 s[2:3], 31, v36
	v_cndmask_b32_e64 v1, 0, v15, s[2:3]
	v_add_u32_e32 v36, v1, v36
	v_mov_b32_e32 v1, v34
	v_mad_u64_u32 v[34:35], s[4:5], v35, s36, v[1:2]
	v_cmp_lt_u32_e64 s[4:5], 31, v36
	v_cndmask_b32_e64 v1, 0, v15, s[4:5]
	v_add_u32_e32 v1, v1, v36
	v_cndmask_b32_e32 v36, v33, v31, vcc
	v_cndmask_b32_e32 v34, v34, v32, vcc
	v_cndmask_b32_e32 v33, v35, v33, vcc
	v_cndmask_b32_e32 v32, v32, v30, vcc
	v_cndmask_b32_e64 v35, v34, v36, s[2:3]
	v_cndmask_b32_e64 v33, v33, v34, s[2:3]
	;; [unrolled: 1-line block ×3, first 2 shown]
	v_sub_u32_e32 v36, 32, v1
	v_cmp_eq_u32_e64 s[6:7], 0, v1
	v_cndmask_b32_e32 v1, v31, v29, vcc
	v_cndmask_b32_e64 v33, v33, v35, s[4:5]
	v_cndmask_b32_e64 v35, v35, v34, s[4:5]
	;; [unrolled: 1-line block ×3, first 2 shown]
	v_alignbit_b32 v37, v33, v35, v36
	v_cndmask_b32_e64 v31, v34, v29, s[4:5]
	v_cndmask_b32_e64 v33, v37, v33, s[6:7]
	v_alignbit_b32 v32, v35, v31, v36
	v_cndmask_b32_e32 v28, v30, v28, vcc
	v_cndmask_b32_e64 v32, v32, v35, s[6:7]
	v_bfe_u32 v37, v33, 29, 1
	v_cndmask_b32_e64 v1, v1, v28, s[2:3]
	v_alignbit_b32 v34, v33, v32, 30
	v_sub_u32_e32 v38, 0, v37
	v_cndmask_b32_e64 v1, v29, v1, s[4:5]
	v_xor_b32_e32 v34, v34, v38
	v_alignbit_b32 v28, v31, v1, v36
	v_cndmask_b32_e64 v28, v28, v31, s[6:7]
	v_ffbh_u32_e32 v30, v34
	v_alignbit_b32 v29, v32, v28, 30
	v_min_u32_e32 v30, 32, v30
	v_alignbit_b32 v1, v28, v1, 30
	v_xor_b32_e32 v29, v29, v38
	v_sub_u32_e32 v31, 31, v30
	v_xor_b32_e32 v1, v1, v38
	v_alignbit_b32 v32, v34, v29, v31
	v_alignbit_b32 v1, v29, v1, v31
	;; [unrolled: 1-line block ×3, first 2 shown]
	v_ffbh_u32_e32 v29, v28
	v_min_u32_e32 v29, 32, v29
	v_lshrrev_b32_e32 v35, 29, v33
	v_not_b32_e32 v31, v29
	v_alignbit_b32 v1, v28, v1, v31
	v_lshlrev_b32_e32 v28, 31, v35
	v_or_b32_e32 v31, 0x33000000, v28
	v_add_lshl_u32 v29, v29, v30, 23
	v_lshrrev_b32_e32 v1, 9, v1
	v_sub_u32_e32 v29, v31, v29
	v_or_b32_e32 v28, 0.5, v28
	v_lshlrev_b32_e32 v30, 23, v30
	v_or_b32_e32 v1, v29, v1
	v_lshrrev_b32_e32 v29, 9, v32
	v_sub_u32_e32 v28, v28, v30
	v_or_b32_e32 v28, v29, v28
	v_mul_f32_e32 v29, 0x3fc90fda, v28
	v_fma_f32 v30, v28, s37, -v29
	v_fmac_f32_e32 v30, 0x33a22168, v28
	v_fmac_f32_e32 v30, 0x3fc90fda, v1
	v_lshrrev_b32_e32 v28, 30, v33
	v_add_f32_e32 v1, v29, v30
	v_add_u32_e32 v28, v37, v28
.LBB0_8:                                ;   in Loop: Header=BB0_6 Depth=2
	s_andn2_saveexec_b64 s[2:3], s[24:25]
	s_cbranch_execz .LBB0_5
; %bb.9:                                ;   in Loop: Header=BB0_6 Depth=2
	v_mul_f32_e64 v1, |v26|, s38
	v_rndne_f32_e32 v29, v1
	v_cvt_i32_f32_e32 v28, v29
	v_fma_f32 v1, v29, s39, |v26|
	v_fmac_f32_e32 v1, 0xb3a22168, v29
	v_fmac_f32_e32 v1, 0xa7c234c4, v29
	s_branch .LBB0_5
.LBB0_10:                               ;   in Loop: Header=BB0_3 Depth=1
	v_add_f32_e32 v1, v24, v24
	v_sub_f32_e32 v26, v23, v22
	v_max_f32_e64 v28, |v26|, |v1|
	v_frexp_mant_f32_e32 v29, v28
	v_rcp_f32_e32 v29, v29
	v_min_f32_e64 v27, |v26|, |v1|
	v_frexp_exp_i32_f32_e32 v28, v28
	v_frexp_exp_i32_f32_e32 v30, v27
	v_frexp_mant_f32_e32 v27, v27
	v_mul_f32_e32 v27, v27, v29
	v_sub_u32_e32 v28, v30, v28
	v_ldexp_f32 v27, v27, v28
	v_mul_f32_e32 v28, v27, v27
	v_mov_b32_e32 v29, 0xbc7a590c
	v_fmac_f32_e32 v29, 0x3b2d2a58, v28
	v_mov_b32_e32 v30, 0x3d29fb3f
	v_fma_f32 v29, v28, v29, v30
	v_fma_f32 v29, v28, v29, v9
	;; [unrolled: 1-line block ×6, first 2 shown]
	v_mul_f32_e32 v28, v28, v29
	v_fmac_f32_e32 v27, v27, v28
	v_sub_f32_e32 v28, 0x3fc90fdb, v27
	v_cmp_gt_f32_e64 vcc, |v1|, |v26|
	v_cndmask_b32_e32 v27, v27, v28, vcc
	v_sub_f32_e32 v28, 0x40490fdb, v27
	v_cmp_gt_f32_e32 vcc, 0, v26
	v_cmp_gt_i32_e64 s[2:3], 0, v26
	v_cndmask_b32_e32 v27, v27, v28, vcc
	v_cndmask_b32_e64 v28, 0, v17, s[2:3]
	v_cmp_eq_f32_e64 s[2:3], 0, v1
	v_cndmask_b32_e64 v27, v27, v28, s[2:3]
	v_cmp_class_f32_e64 s[2:3], v26, s41
	v_cmp_class_f32_e64 s[4:5], v1, s41
	v_cndmask_b32_e32 v28, v18, v19, vcc
	s_and_b64 vcc, s[2:3], s[4:5]
	v_cndmask_b32_e32 v27, v27, v28, vcc
	v_cmp_o_f32_e32 vcc, v26, v1
	v_cndmask_b32_e32 v26, v16, v27, vcc
	v_bfi_b32 v1, s13, v26, v1
	s_waitcnt vmcnt(0)
	v_add_f32_e32 v26, v25, v25
	v_div_scale_f32 v27, s[2:3], v26, v26, v1
	v_div_scale_f32 v28, vcc, v1, v26, v1
	v_rcp_f32_e32 v29, v27
	v_fma_f32 v30, -v27, v29, 1.0
	v_fmac_f32_e32 v29, v30, v29
	v_mul_f32_e32 v30, v28, v29
	v_fma_f32 v31, -v27, v30, v28
	v_fmac_f32_e32 v30, v31, v29
	v_fma_f32 v27, -v27, v30, v28
	v_div_fmas_f32 v27, v27, v29, v30
	v_div_fixup_f32 v1, v27, v26, v1
	v_mul_f32_e32 v25, v25, v1
	v_and_b32_e32 v26, 0x7fffffff, v25
	v_cmp_nlt_f32_e64 s[2:3], |v25|, s28
                                        ; implicit-def: $vgpr27
                                        ; implicit-def: $vgpr1
	s_and_saveexec_b64 s[4:5], s[2:3]
	s_xor_b64 s[20:21], exec, s[4:5]
	s_cbranch_execz .LBB0_12
; %bb.11:                               ;   in Loop: Header=BB0_3 Depth=1
	v_and_b32_e32 v1, 0x7fffff, v26
	v_or_b32_e32 v34, 0x800000, v1
	v_mad_u64_u32 v[27:28], s[2:3], v34, s29, 0
	v_mov_b32_e32 v1, v28
	v_mad_u64_u32 v[28:29], s[2:3], v34, s30, v[1:2]
	v_mov_b32_e32 v1, v29
	;; [unrolled: 2-line block ×3, first 2 shown]
	v_mad_u64_u32 v[30:31], s[2:3], v34, s33, v[1:2]
	v_lshrrev_b32_e32 v1, 23, v26
	v_add_u32_e32 v33, 0xffffff88, v1
	v_mov_b32_e32 v1, v31
	v_mad_u64_u32 v[31:32], s[2:3], v34, s34, v[1:2]
	v_cmp_lt_u32_e32 vcc, 63, v33
	v_cndmask_b32_e32 v1, 0, v14, vcc
	v_add_u32_e32 v35, v1, v33
	v_mov_b32_e32 v1, v32
	v_mad_u64_u32 v[32:33], s[2:3], v34, s35, v[1:2]
	v_cmp_lt_u32_e64 s[2:3], 31, v35
	v_cndmask_b32_e64 v1, 0, v15, s[2:3]
	v_add_u32_e32 v35, v1, v35
	v_mov_b32_e32 v1, v33
	v_mad_u64_u32 v[33:34], s[4:5], v34, s36, v[1:2]
	v_cmp_lt_u32_e64 s[4:5], 31, v35
	v_cndmask_b32_e64 v1, 0, v15, s[4:5]
	v_add_u32_e32 v1, v1, v35
	v_cndmask_b32_e32 v35, v32, v30, vcc
	v_cndmask_b32_e32 v33, v33, v31, vcc
	;; [unrolled: 1-line block ×4, first 2 shown]
	v_cndmask_b32_e64 v34, v33, v35, s[2:3]
	v_cndmask_b32_e64 v32, v32, v33, s[2:3]
	;; [unrolled: 1-line block ×3, first 2 shown]
	v_sub_u32_e32 v35, 32, v1
	v_cmp_eq_u32_e64 s[6:7], 0, v1
	v_cndmask_b32_e32 v1, v30, v28, vcc
	v_cndmask_b32_e64 v32, v32, v34, s[4:5]
	v_cndmask_b32_e64 v34, v34, v33, s[4:5]
	;; [unrolled: 1-line block ×3, first 2 shown]
	v_alignbit_b32 v36, v32, v34, v35
	v_cndmask_b32_e64 v30, v33, v28, s[4:5]
	v_cndmask_b32_e64 v32, v36, v32, s[6:7]
	v_alignbit_b32 v31, v34, v30, v35
	v_cndmask_b32_e32 v27, v29, v27, vcc
	v_cndmask_b32_e64 v31, v31, v34, s[6:7]
	v_bfe_u32 v36, v32, 29, 1
	v_cndmask_b32_e64 v1, v1, v27, s[2:3]
	v_alignbit_b32 v33, v32, v31, 30
	v_sub_u32_e32 v37, 0, v36
	v_cndmask_b32_e64 v1, v28, v1, s[4:5]
	v_xor_b32_e32 v33, v33, v37
	v_alignbit_b32 v27, v30, v1, v35
	v_cndmask_b32_e64 v27, v27, v30, s[6:7]
	v_ffbh_u32_e32 v29, v33
	v_alignbit_b32 v28, v31, v27, 30
	v_min_u32_e32 v29, 32, v29
	v_alignbit_b32 v1, v27, v1, 30
	v_xor_b32_e32 v28, v28, v37
	v_sub_u32_e32 v30, 31, v29
	v_xor_b32_e32 v1, v1, v37
	v_alignbit_b32 v31, v33, v28, v30
	v_alignbit_b32 v1, v28, v1, v30
	;; [unrolled: 1-line block ×3, first 2 shown]
	v_ffbh_u32_e32 v28, v27
	v_min_u32_e32 v28, 32, v28
	v_lshrrev_b32_e32 v34, 29, v32
	v_not_b32_e32 v30, v28
	v_alignbit_b32 v1, v27, v1, v30
	v_lshlrev_b32_e32 v27, 31, v34
	v_or_b32_e32 v30, 0x33000000, v27
	v_add_lshl_u32 v28, v28, v29, 23
	v_lshrrev_b32_e32 v1, 9, v1
	v_sub_u32_e32 v28, v30, v28
	v_or_b32_e32 v27, 0.5, v27
	v_lshlrev_b32_e32 v29, 23, v29
	v_or_b32_e32 v1, v28, v1
	v_lshrrev_b32_e32 v28, 9, v31
	v_sub_u32_e32 v27, v27, v29
	v_or_b32_e32 v27, v28, v27
	v_mul_f32_e32 v28, 0x3fc90fda, v27
	v_fma_f32 v29, v27, s37, -v28
	v_fmac_f32_e32 v29, 0x33a22168, v27
	v_fmac_f32_e32 v29, 0x3fc90fda, v1
	v_lshrrev_b32_e32 v27, 30, v32
	v_add_f32_e32 v1, v28, v29
	v_add_u32_e32 v27, v36, v27
.LBB0_12:                               ;   in Loop: Header=BB0_3 Depth=1
	s_andn2_saveexec_b64 s[2:3], s[20:21]
	s_cbranch_execz .LBB0_2
; %bb.13:                               ;   in Loop: Header=BB0_3 Depth=1
	v_mul_f32_e64 v1, |v25|, s38
	v_rndne_f32_e32 v28, v1
	v_cvt_i32_f32_e32 v27, v28
	v_fma_f32 v1, v28, s39, |v25|
	v_fmac_f32_e32 v1, 0xb3a22168, v28
	v_fmac_f32_e32 v1, 0xa7c234c4, v28
	s_branch .LBB0_2
.LBB0_14:
	s_endpgm
	.section	.rodata,"a",@progbits
	.p2align	6, 0x0
	.amdhsa_kernel _Z11lombscargleiiPKfS0_S0_Pff
		.amdhsa_group_segment_fixed_size 0
		.amdhsa_private_segment_fixed_size 0
		.amdhsa_kernarg_size 304
		.amdhsa_user_sgpr_count 6
		.amdhsa_user_sgpr_private_segment_buffer 1
		.amdhsa_user_sgpr_dispatch_ptr 0
		.amdhsa_user_sgpr_queue_ptr 0
		.amdhsa_user_sgpr_kernarg_segment_ptr 1
		.amdhsa_user_sgpr_dispatch_id 0
		.amdhsa_user_sgpr_flat_scratch_init 0
		.amdhsa_user_sgpr_private_segment_size 0
		.amdhsa_uses_dynamic_stack 0
		.amdhsa_system_sgpr_private_segment_wavefront_offset 0
		.amdhsa_system_sgpr_workgroup_id_x 1
		.amdhsa_system_sgpr_workgroup_id_y 0
		.amdhsa_system_sgpr_workgroup_id_z 0
		.amdhsa_system_sgpr_workgroup_info 0
		.amdhsa_system_vgpr_workitem_id 0
		.amdhsa_next_free_vgpr 39
		.amdhsa_next_free_sgpr 43
		.amdhsa_reserve_vcc 1
		.amdhsa_reserve_flat_scratch 0
		.amdhsa_float_round_mode_32 0
		.amdhsa_float_round_mode_16_64 0
		.amdhsa_float_denorm_mode_32 3
		.amdhsa_float_denorm_mode_16_64 3
		.amdhsa_dx10_clamp 1
		.amdhsa_ieee_mode 1
		.amdhsa_fp16_overflow 0
		.amdhsa_exception_fp_ieee_invalid_op 0
		.amdhsa_exception_fp_denorm_src 0
		.amdhsa_exception_fp_ieee_div_zero 0
		.amdhsa_exception_fp_ieee_overflow 0
		.amdhsa_exception_fp_ieee_underflow 0
		.amdhsa_exception_fp_ieee_inexact 0
		.amdhsa_exception_int_div_zero 0
	.end_amdhsa_kernel
	.text
.Lfunc_end0:
	.size	_Z11lombscargleiiPKfS0_S0_Pff, .Lfunc_end0-_Z11lombscargleiiPKfS0_S0_Pff
                                        ; -- End function
	.set _Z11lombscargleiiPKfS0_S0_Pff.num_vgpr, 39
	.set _Z11lombscargleiiPKfS0_S0_Pff.num_agpr, 0
	.set _Z11lombscargleiiPKfS0_S0_Pff.numbered_sgpr, 43
	.set _Z11lombscargleiiPKfS0_S0_Pff.num_named_barrier, 0
	.set _Z11lombscargleiiPKfS0_S0_Pff.private_seg_size, 0
	.set _Z11lombscargleiiPKfS0_S0_Pff.uses_vcc, 1
	.set _Z11lombscargleiiPKfS0_S0_Pff.uses_flat_scratch, 0
	.set _Z11lombscargleiiPKfS0_S0_Pff.has_dyn_sized_stack, 0
	.set _Z11lombscargleiiPKfS0_S0_Pff.has_recursion, 0
	.set _Z11lombscargleiiPKfS0_S0_Pff.has_indirect_call, 0
	.section	.AMDGPU.csdata,"",@progbits
; Kernel info:
; codeLenInByte = 2608
; TotalNumSgprs: 47
; NumVgprs: 39
; ScratchSize: 0
; MemoryBound: 0
; FloatMode: 240
; IeeeMode: 1
; LDSByteSize: 0 bytes/workgroup (compile time only)
; SGPRBlocks: 5
; VGPRBlocks: 9
; NumSGPRsForWavesPerEU: 47
; NumVGPRsForWavesPerEU: 39
; Occupancy: 6
; WaveLimiterHint : 0
; COMPUTE_PGM_RSRC2:SCRATCH_EN: 0
; COMPUTE_PGM_RSRC2:USER_SGPR: 6
; COMPUTE_PGM_RSRC2:TRAP_HANDLER: 0
; COMPUTE_PGM_RSRC2:TGID_X_EN: 1
; COMPUTE_PGM_RSRC2:TGID_Y_EN: 0
; COMPUTE_PGM_RSRC2:TGID_Z_EN: 0
; COMPUTE_PGM_RSRC2:TIDIG_COMP_CNT: 0
	.section	.AMDGPU.gpr_maximums,"",@progbits
	.set amdgpu.max_num_vgpr, 0
	.set amdgpu.max_num_agpr, 0
	.set amdgpu.max_num_sgpr, 0
	.section	.AMDGPU.csdata,"",@progbits
	.type	__hip_cuid_57d3ab51d004beb,@object ; @__hip_cuid_57d3ab51d004beb
	.section	.bss,"aw",@nobits
	.globl	__hip_cuid_57d3ab51d004beb
__hip_cuid_57d3ab51d004beb:
	.byte	0                               ; 0x0
	.size	__hip_cuid_57d3ab51d004beb, 1

	.ident	"AMD clang version 22.0.0git (https://github.com/RadeonOpenCompute/llvm-project roc-7.2.4 26084 f58b06dce1f9c15707c5f808fd002e18c2accf7e)"
	.section	".note.GNU-stack","",@progbits
	.addrsig
	.addrsig_sym __hip_cuid_57d3ab51d004beb
	.amdgpu_metadata
---
amdhsa.kernels:
  - .args:
      - .offset:         0
        .size:           4
        .value_kind:     by_value
      - .offset:         4
        .size:           4
        .value_kind:     by_value
      - .actual_access:  read_only
        .address_space:  global
        .offset:         8
        .size:           8
        .value_kind:     global_buffer
      - .actual_access:  read_only
        .address_space:  global
        .offset:         16
        .size:           8
        .value_kind:     global_buffer
      - .actual_access:  read_only
        .address_space:  global
        .offset:         24
        .size:           8
        .value_kind:     global_buffer
      - .actual_access:  write_only
        .address_space:  global
        .offset:         32
        .size:           8
        .value_kind:     global_buffer
      - .offset:         40
        .size:           4
        .value_kind:     by_value
      - .offset:         48
        .size:           4
        .value_kind:     hidden_block_count_x
      - .offset:         52
        .size:           4
        .value_kind:     hidden_block_count_y
      - .offset:         56
        .size:           4
        .value_kind:     hidden_block_count_z
      - .offset:         60
        .size:           2
        .value_kind:     hidden_group_size_x
      - .offset:         62
        .size:           2
        .value_kind:     hidden_group_size_y
      - .offset:         64
        .size:           2
        .value_kind:     hidden_group_size_z
      - .offset:         66
        .size:           2
        .value_kind:     hidden_remainder_x
      - .offset:         68
        .size:           2
        .value_kind:     hidden_remainder_y
      - .offset:         70
        .size:           2
        .value_kind:     hidden_remainder_z
      - .offset:         88
        .size:           8
        .value_kind:     hidden_global_offset_x
      - .offset:         96
        .size:           8
        .value_kind:     hidden_global_offset_y
      - .offset:         104
        .size:           8
        .value_kind:     hidden_global_offset_z
      - .offset:         112
        .size:           2
        .value_kind:     hidden_grid_dims
    .group_segment_fixed_size: 0
    .kernarg_segment_align: 8
    .kernarg_segment_size: 304
    .language:       OpenCL C
    .language_version:
      - 2
      - 0
    .max_flat_workgroup_size: 1024
    .name:           _Z11lombscargleiiPKfS0_S0_Pff
    .private_segment_fixed_size: 0
    .sgpr_count:     47
    .sgpr_spill_count: 0
    .symbol:         _Z11lombscargleiiPKfS0_S0_Pff.kd
    .uniform_work_group_size: 1
    .uses_dynamic_stack: false
    .vgpr_count:     39
    .vgpr_spill_count: 0
    .wavefront_size: 64
amdhsa.target:   amdgcn-amd-amdhsa--gfx906
amdhsa.version:
  - 1
  - 2
...

	.end_amdgpu_metadata
